;; amdgpu-corpus repo=ROCm/rocFFT kind=compiled arch=gfx1201 opt=O3
	.text
	.amdgcn_target "amdgcn-amd-amdhsa--gfx1201"
	.amdhsa_code_object_version 6
	.protected	fft_rtc_fwd_len540_factors_3_10_6_3_wgs_216_tpt_54_halfLds_half_op_CI_CI_unitstride_sbrr_R2C_dirReg ; -- Begin function fft_rtc_fwd_len540_factors_3_10_6_3_wgs_216_tpt_54_halfLds_half_op_CI_CI_unitstride_sbrr_R2C_dirReg
	.globl	fft_rtc_fwd_len540_factors_3_10_6_3_wgs_216_tpt_54_halfLds_half_op_CI_CI_unitstride_sbrr_R2C_dirReg
	.p2align	8
	.type	fft_rtc_fwd_len540_factors_3_10_6_3_wgs_216_tpt_54_halfLds_half_op_CI_CI_unitstride_sbrr_R2C_dirReg,@function
fft_rtc_fwd_len540_factors_3_10_6_3_wgs_216_tpt_54_halfLds_half_op_CI_CI_unitstride_sbrr_R2C_dirReg: ; @fft_rtc_fwd_len540_factors_3_10_6_3_wgs_216_tpt_54_halfLds_half_op_CI_CI_unitstride_sbrr_R2C_dirReg
; %bb.0:
	s_clause 0x2
	s_load_b128 s[8:11], s[0:1], 0x0
	s_load_b128 s[4:7], s[0:1], 0x58
	;; [unrolled: 1-line block ×3, first 2 shown]
	v_mul_u32_u24_e32 v1, 0x4be, v0
	v_dual_mov_b32 v3, 0 :: v_dual_mov_b32 v12, 0
	v_mov_b32_e32 v13, 0
	s_delay_alu instid0(VALU_DEP_3) | instskip(NEXT) | instid1(VALU_DEP_3)
	v_lshrrev_b32_e32 v9, 16, v1
	v_mov_b32_e32 v8, v3
	s_delay_alu instid0(VALU_DEP_2) | instskip(SKIP_2) | instid1(VALU_DEP_1)
	v_lshl_add_u32 v7, ttmp9, 2, v9
	s_wait_kmcnt 0x0
	v_cmp_lt_u64_e64 s2, s[10:11], 2
	s_and_b32 vcc_lo, exec_lo, s2
	s_cbranch_vccnz .LBB0_8
; %bb.1:
	s_load_b64 s[2:3], s[0:1], 0x10
	v_mov_b32_e32 v12, 0
	v_mov_b32_e32 v13, 0
	s_delay_alu instid0(VALU_DEP_2)
	v_mov_b32_e32 v1, v12
	s_add_nc_u64 s[16:17], s[14:15], 8
	s_add_nc_u64 s[18:19], s[12:13], 8
	s_mov_b64 s[20:21], 1
	v_mov_b32_e32 v2, v13
	s_wait_kmcnt 0x0
	s_add_nc_u64 s[22:23], s[2:3], 8
	s_mov_b32 s3, 0
.LBB0_2:                                ; =>This Inner Loop Header: Depth=1
	s_load_b64 s[24:25], s[22:23], 0x0
                                        ; implicit-def: $vgpr5_vgpr6
	s_mov_b32 s2, exec_lo
	s_wait_kmcnt 0x0
	v_or_b32_e32 v4, s25, v8
	s_delay_alu instid0(VALU_DEP_1)
	v_cmpx_ne_u64_e32 0, v[3:4]
	s_wait_alu 0xfffe
	s_xor_b32 s26, exec_lo, s2
	s_cbranch_execz .LBB0_4
; %bb.3:                                ;   in Loop: Header=BB0_2 Depth=1
	s_cvt_f32_u32 s2, s24
	s_cvt_f32_u32 s27, s25
	s_sub_nc_u64 s[30:31], 0, s[24:25]
	s_wait_alu 0xfffe
	s_delay_alu instid0(SALU_CYCLE_1) | instskip(SKIP_1) | instid1(SALU_CYCLE_2)
	s_fmamk_f32 s2, s27, 0x4f800000, s2
	s_wait_alu 0xfffe
	v_s_rcp_f32 s2, s2
	s_delay_alu instid0(TRANS32_DEP_1) | instskip(SKIP_1) | instid1(SALU_CYCLE_2)
	s_mul_f32 s2, s2, 0x5f7ffffc
	s_wait_alu 0xfffe
	s_mul_f32 s27, s2, 0x2f800000
	s_wait_alu 0xfffe
	s_delay_alu instid0(SALU_CYCLE_2) | instskip(SKIP_1) | instid1(SALU_CYCLE_2)
	s_trunc_f32 s27, s27
	s_wait_alu 0xfffe
	s_fmamk_f32 s2, s27, 0xcf800000, s2
	s_cvt_u32_f32 s29, s27
	s_wait_alu 0xfffe
	s_delay_alu instid0(SALU_CYCLE_1) | instskip(SKIP_1) | instid1(SALU_CYCLE_2)
	s_cvt_u32_f32 s28, s2
	s_wait_alu 0xfffe
	s_mul_u64 s[34:35], s[30:31], s[28:29]
	s_wait_alu 0xfffe
	s_mul_hi_u32 s37, s28, s35
	s_mul_i32 s36, s28, s35
	s_mul_hi_u32 s2, s28, s34
	s_mul_i32 s33, s29, s34
	s_wait_alu 0xfffe
	s_add_nc_u64 s[36:37], s[2:3], s[36:37]
	s_mul_hi_u32 s27, s29, s34
	s_mul_hi_u32 s38, s29, s35
	s_add_co_u32 s2, s36, s33
	s_wait_alu 0xfffe
	s_add_co_ci_u32 s2, s37, s27
	s_mul_i32 s34, s29, s35
	s_add_co_ci_u32 s35, s38, 0
	s_wait_alu 0xfffe
	s_add_nc_u64 s[34:35], s[2:3], s[34:35]
	s_wait_alu 0xfffe
	v_add_co_u32 v4, s2, s28, s34
	s_delay_alu instid0(VALU_DEP_1) | instskip(SKIP_1) | instid1(VALU_DEP_1)
	s_cmp_lg_u32 s2, 0
	s_add_co_ci_u32 s29, s29, s35
	v_readfirstlane_b32 s28, v4
	s_wait_alu 0xfffe
	s_delay_alu instid0(VALU_DEP_1)
	s_mul_u64 s[30:31], s[30:31], s[28:29]
	s_wait_alu 0xfffe
	s_mul_hi_u32 s35, s28, s31
	s_mul_i32 s34, s28, s31
	s_mul_hi_u32 s2, s28, s30
	s_mul_i32 s33, s29, s30
	s_wait_alu 0xfffe
	s_add_nc_u64 s[34:35], s[2:3], s[34:35]
	s_mul_hi_u32 s27, s29, s30
	s_mul_hi_u32 s28, s29, s31
	s_wait_alu 0xfffe
	s_add_co_u32 s2, s34, s33
	s_add_co_ci_u32 s2, s35, s27
	s_mul_i32 s30, s29, s31
	s_add_co_ci_u32 s31, s28, 0
	s_wait_alu 0xfffe
	s_add_nc_u64 s[30:31], s[2:3], s[30:31]
	s_wait_alu 0xfffe
	v_add_co_u32 v6, s2, v4, s30
	s_delay_alu instid0(VALU_DEP_1) | instskip(SKIP_1) | instid1(VALU_DEP_1)
	s_cmp_lg_u32 s2, 0
	s_add_co_ci_u32 s2, s29, s31
	v_mul_hi_u32 v16, v7, v6
	s_wait_alu 0xfffe
	v_mad_co_u64_u32 v[4:5], null, v7, s2, 0
	v_mad_co_u64_u32 v[10:11], null, v8, v6, 0
	;; [unrolled: 1-line block ×3, first 2 shown]
	s_delay_alu instid0(VALU_DEP_3) | instskip(SKIP_1) | instid1(VALU_DEP_4)
	v_add_co_u32 v4, vcc_lo, v16, v4
	s_wait_alu 0xfffd
	v_add_co_ci_u32_e32 v5, vcc_lo, 0, v5, vcc_lo
	s_delay_alu instid0(VALU_DEP_2) | instskip(SKIP_1) | instid1(VALU_DEP_2)
	v_add_co_u32 v4, vcc_lo, v4, v10
	s_wait_alu 0xfffd
	v_add_co_ci_u32_e32 v4, vcc_lo, v5, v11, vcc_lo
	s_wait_alu 0xfffd
	v_add_co_ci_u32_e32 v5, vcc_lo, 0, v15, vcc_lo
	s_delay_alu instid0(VALU_DEP_2) | instskip(SKIP_1) | instid1(VALU_DEP_2)
	v_add_co_u32 v10, vcc_lo, v4, v14
	s_wait_alu 0xfffd
	v_add_co_ci_u32_e32 v6, vcc_lo, 0, v5, vcc_lo
	s_delay_alu instid0(VALU_DEP_2) | instskip(SKIP_1) | instid1(VALU_DEP_3)
	v_mul_lo_u32 v11, s25, v10
	v_mad_co_u64_u32 v[4:5], null, s24, v10, 0
	v_mul_lo_u32 v14, s24, v6
	s_delay_alu instid0(VALU_DEP_2) | instskip(NEXT) | instid1(VALU_DEP_2)
	v_sub_co_u32 v4, vcc_lo, v7, v4
	v_add3_u32 v5, v5, v14, v11
	s_delay_alu instid0(VALU_DEP_1) | instskip(SKIP_1) | instid1(VALU_DEP_1)
	v_sub_nc_u32_e32 v11, v8, v5
	s_wait_alu 0xfffd
	v_subrev_co_ci_u32_e64 v11, s2, s25, v11, vcc_lo
	v_add_co_u32 v14, s2, v10, 2
	s_wait_alu 0xf1ff
	v_add_co_ci_u32_e64 v15, s2, 0, v6, s2
	v_sub_co_u32 v16, s2, v4, s24
	v_sub_co_ci_u32_e32 v5, vcc_lo, v8, v5, vcc_lo
	s_wait_alu 0xf1ff
	v_subrev_co_ci_u32_e64 v11, s2, 0, v11, s2
	s_delay_alu instid0(VALU_DEP_3) | instskip(NEXT) | instid1(VALU_DEP_3)
	v_cmp_le_u32_e32 vcc_lo, s24, v16
	v_cmp_eq_u32_e64 s2, s25, v5
	s_wait_alu 0xfffd
	v_cndmask_b32_e64 v16, 0, -1, vcc_lo
	v_cmp_le_u32_e32 vcc_lo, s25, v11
	s_wait_alu 0xfffd
	v_cndmask_b32_e64 v17, 0, -1, vcc_lo
	v_cmp_le_u32_e32 vcc_lo, s24, v4
	;; [unrolled: 3-line block ×3, first 2 shown]
	s_wait_alu 0xfffd
	v_cndmask_b32_e64 v18, 0, -1, vcc_lo
	v_cmp_eq_u32_e32 vcc_lo, s25, v11
	s_wait_alu 0xf1ff
	s_delay_alu instid0(VALU_DEP_2)
	v_cndmask_b32_e64 v4, v18, v4, s2
	s_wait_alu 0xfffd
	v_cndmask_b32_e32 v11, v17, v16, vcc_lo
	v_add_co_u32 v16, vcc_lo, v10, 1
	s_wait_alu 0xfffd
	v_add_co_ci_u32_e32 v17, vcc_lo, 0, v6, vcc_lo
	s_delay_alu instid0(VALU_DEP_3) | instskip(SKIP_1) | instid1(VALU_DEP_2)
	v_cmp_ne_u32_e32 vcc_lo, 0, v11
	s_wait_alu 0xfffd
	v_cndmask_b32_e32 v5, v17, v15, vcc_lo
	v_cndmask_b32_e32 v11, v16, v14, vcc_lo
	v_cmp_ne_u32_e32 vcc_lo, 0, v4
	s_wait_alu 0xfffd
	s_delay_alu instid0(VALU_DEP_3) | instskip(NEXT) | instid1(VALU_DEP_3)
	v_cndmask_b32_e32 v6, v6, v5, vcc_lo
	v_cndmask_b32_e32 v5, v10, v11, vcc_lo
.LBB0_4:                                ;   in Loop: Header=BB0_2 Depth=1
	s_wait_alu 0xfffe
	s_and_not1_saveexec_b32 s2, s26
	s_cbranch_execz .LBB0_6
; %bb.5:                                ;   in Loop: Header=BB0_2 Depth=1
	v_cvt_f32_u32_e32 v4, s24
	s_sub_co_i32 s26, 0, s24
	s_delay_alu instid0(VALU_DEP_1) | instskip(NEXT) | instid1(TRANS32_DEP_1)
	v_rcp_iflag_f32_e32 v4, v4
	v_mul_f32_e32 v4, 0x4f7ffffe, v4
	s_delay_alu instid0(VALU_DEP_1) | instskip(SKIP_1) | instid1(VALU_DEP_1)
	v_cvt_u32_f32_e32 v4, v4
	s_wait_alu 0xfffe
	v_mul_lo_u32 v5, s26, v4
	s_delay_alu instid0(VALU_DEP_1) | instskip(NEXT) | instid1(VALU_DEP_1)
	v_mul_hi_u32 v5, v4, v5
	v_add_nc_u32_e32 v4, v4, v5
	s_delay_alu instid0(VALU_DEP_1) | instskip(NEXT) | instid1(VALU_DEP_1)
	v_mul_hi_u32 v4, v7, v4
	v_mul_lo_u32 v5, v4, s24
	v_add_nc_u32_e32 v6, 1, v4
	s_delay_alu instid0(VALU_DEP_2) | instskip(NEXT) | instid1(VALU_DEP_1)
	v_sub_nc_u32_e32 v5, v7, v5
	v_subrev_nc_u32_e32 v10, s24, v5
	v_cmp_le_u32_e32 vcc_lo, s24, v5
	s_wait_alu 0xfffd
	s_delay_alu instid0(VALU_DEP_2) | instskip(SKIP_1) | instid1(VALU_DEP_2)
	v_cndmask_b32_e32 v5, v5, v10, vcc_lo
	v_cndmask_b32_e32 v4, v4, v6, vcc_lo
	v_cmp_le_u32_e32 vcc_lo, s24, v5
	s_delay_alu instid0(VALU_DEP_2) | instskip(SKIP_1) | instid1(VALU_DEP_1)
	v_add_nc_u32_e32 v6, 1, v4
	s_wait_alu 0xfffd
	v_dual_cndmask_b32 v5, v4, v6 :: v_dual_mov_b32 v6, v3
.LBB0_6:                                ;   in Loop: Header=BB0_2 Depth=1
	s_wait_alu 0xfffe
	s_or_b32 exec_lo, exec_lo, s2
	s_delay_alu instid0(VALU_DEP_1) | instskip(NEXT) | instid1(VALU_DEP_2)
	v_mul_lo_u32 v4, v6, s24
	v_mul_lo_u32 v14, v5, s25
	s_load_b64 s[26:27], s[18:19], 0x0
	v_mad_co_u64_u32 v[10:11], null, v5, s24, 0
	s_load_b64 s[24:25], s[16:17], 0x0
	s_add_nc_u64 s[20:21], s[20:21], 1
	s_add_nc_u64 s[16:17], s[16:17], 8
	s_wait_alu 0xfffe
	v_cmp_ge_u64_e64 s2, s[20:21], s[10:11]
	s_add_nc_u64 s[18:19], s[18:19], 8
	s_add_nc_u64 s[22:23], s[22:23], 8
	v_add3_u32 v4, v11, v14, v4
	v_sub_co_u32 v7, vcc_lo, v7, v10
	s_wait_alu 0xfffd
	s_delay_alu instid0(VALU_DEP_2) | instskip(SKIP_2) | instid1(VALU_DEP_1)
	v_sub_co_ci_u32_e32 v4, vcc_lo, v8, v4, vcc_lo
	s_and_b32 vcc_lo, exec_lo, s2
	s_wait_kmcnt 0x0
	v_mul_lo_u32 v8, s26, v4
	v_mul_lo_u32 v10, s27, v7
	v_mad_co_u64_u32 v[12:13], null, s26, v7, v[12:13]
	v_mul_lo_u32 v4, s24, v4
	v_mul_lo_u32 v11, s25, v7
	v_mad_co_u64_u32 v[1:2], null, s24, v7, v[1:2]
	s_delay_alu instid0(VALU_DEP_4) | instskip(NEXT) | instid1(VALU_DEP_2)
	v_add3_u32 v13, v10, v13, v8
	v_add3_u32 v2, v11, v2, v4
	s_wait_alu 0xfffe
	s_cbranch_vccnz .LBB0_9
; %bb.7:                                ;   in Loop: Header=BB0_2 Depth=1
	v_dual_mov_b32 v8, v6 :: v_dual_mov_b32 v7, v5
	s_branch .LBB0_2
.LBB0_8:
	v_dual_mov_b32 v1, v12 :: v_dual_mov_b32 v2, v13
	v_dual_mov_b32 v5, v7 :: v_dual_mov_b32 v6, v8
.LBB0_9:
	s_load_b64 s[0:1], s[0:1], 0x28
	v_mul_hi_u32 v4, 0x4bda130, v0
	v_and_b32_e32 v8, 3, v9
	s_lshl_b64 s[10:11], s[10:11], 3
                                        ; implicit-def: $vgpr3
                                        ; implicit-def: $vgpr7
                                        ; implicit-def: $vgpr11
                                        ; implicit-def: $vgpr9
	s_wait_kmcnt 0x0
	v_cmp_gt_u64_e32 vcc_lo, s[0:1], v[5:6]
	v_cmp_le_u64_e64 s0, s[0:1], v[5:6]
	s_delay_alu instid0(VALU_DEP_1)
	s_and_saveexec_b32 s1, s0
	s_wait_alu 0xfffe
	s_xor_b32 s0, exec_lo, s1
; %bb.10:
	v_mul_u32_u24_e32 v3, 54, v4
                                        ; implicit-def: $vgpr4
                                        ; implicit-def: $vgpr12_vgpr13
	s_delay_alu instid0(VALU_DEP_1) | instskip(NEXT) | instid1(VALU_DEP_1)
	v_sub_nc_u32_e32 v3, v0, v3
                                        ; implicit-def: $vgpr0
	v_add_nc_u32_e32 v7, 54, v3
	v_add_nc_u32_e32 v11, 0x6c, v3
	v_add_nc_u32_e32 v9, 0xa2, v3
; %bb.11:
	s_wait_alu 0xfffe
	s_or_saveexec_b32 s1, s0
	v_mul_u32_u24_e32 v8, 0x21d, v8
	s_add_nc_u64 s[2:3], s[14:15], s[10:11]
	s_delay_alu instid0(VALU_DEP_1)
	v_lshlrev_b32_e32 v10, 2, v8
	s_wait_alu 0xfffe
	s_xor_b32 exec_lo, exec_lo, s1
	s_cbranch_execz .LBB0_13
; %bb.12:
	s_add_nc_u64 s[10:11], s[12:13], s[10:11]
	v_lshlrev_b64_e32 v[11:12], 2, v[12:13]
	s_load_b64 s[10:11], s[10:11], 0x0
	s_wait_kmcnt 0x0
	v_mul_lo_u32 v3, s11, v5
	v_mul_lo_u32 v9, s10, v6
	v_mad_co_u64_u32 v[7:8], null, s10, v5, 0
	s_delay_alu instid0(VALU_DEP_1) | instskip(SKIP_1) | instid1(VALU_DEP_2)
	v_add3_u32 v8, v8, v9, v3
	v_mul_u32_u24_e32 v3, 54, v4
	v_lshlrev_b64_e32 v[7:8], 2, v[7:8]
	s_delay_alu instid0(VALU_DEP_2) | instskip(NEXT) | instid1(VALU_DEP_1)
	v_sub_nc_u32_e32 v3, v0, v3
	v_lshlrev_b32_e32 v9, 2, v3
	s_delay_alu instid0(VALU_DEP_3) | instskip(SKIP_1) | instid1(VALU_DEP_4)
	v_add_co_u32 v0, s0, s4, v7
	s_wait_alu 0xf1ff
	v_add_co_ci_u32_e64 v4, s0, s5, v8, s0
	s_delay_alu instid0(VALU_DEP_3) | instskip(NEXT) | instid1(VALU_DEP_3)
	v_add3_u32 v19, 0, v10, v9
	v_add_co_u32 v0, s0, v0, v11
	s_wait_alu 0xf1ff
	s_delay_alu instid0(VALU_DEP_3) | instskip(SKIP_1) | instid1(VALU_DEP_3)
	v_add_co_ci_u32_e64 v4, s0, v4, v12, s0
	v_add_nc_u32_e32 v11, 0x6c, v3
	v_add_co_u32 v7, s0, v0, v9
	s_wait_alu 0xf1ff
	s_delay_alu instid0(VALU_DEP_3)
	v_add_co_ci_u32_e64 v8, s0, 0, v4, s0
	s_clause 0x9
	global_load_b32 v0, v[7:8], off
	global_load_b32 v4, v[7:8], off offset:216
	global_load_b32 v12, v[7:8], off offset:432
	;; [unrolled: 1-line block ×9, first 2 shown]
	v_add_nc_u32_e32 v7, 54, v3
	v_add_nc_u32_e32 v9, 0xa2, v3
	;; [unrolled: 1-line block ×4, first 2 shown]
	s_wait_loadcnt 0x8
	ds_store_2addr_b32 v19, v0, v4 offset1:54
	s_wait_loadcnt 0x6
	ds_store_2addr_b32 v19, v12, v13 offset0:108 offset1:162
	s_wait_loadcnt 0x4
	ds_store_2addr_b32 v20, v14, v15 offset0:88 offset1:142
	;; [unrolled: 2-line block ×4, first 2 shown]
.LBB0_13:
	s_or_b32 exec_lo, exec_lo, s1
	v_lshlrev_b32_e32 v4, 2, v3
	v_add_nc_u32_e32 v0, 0, v10
	s_load_b64 s[4:5], s[2:3], 0x0
	global_wb scope:SCOPE_SE
	s_wait_dscnt 0x0
	s_wait_kmcnt 0x0
	s_barrier_signal -1
	v_add3_u32 v8, 0, v4, v10
	v_add_nc_u32_e32 v22, v0, v4
	s_barrier_wait -1
	global_inv scope:SCOPE_SE
	v_mad_i32_i24 v18, v7, 12, 0
	v_add_nc_u32_e32 v16, 0x400, v8
	ds_load_2addr_b32 v[12:13], v8 offset0:162 offset1:180
	v_add_nc_u32_e32 v17, 0x200, v8
	ds_load_b32 v23, v8 offset:2088
	ds_load_b32 v28, v22
	ds_load_2addr_b32 v[14:15], v16 offset0:86 offset1:104
	ds_load_2addr_b32 v[24:25], v8 offset0:54 offset1:108
	;; [unrolled: 1-line block ×3, first 2 shown]
	v_lshl_add_u32 v31, v3, 3, v8
	ds_load_2addr_b32 v[26:27], v16 offset0:158 offset1:212
	v_mad_i32_i24 v19, v11, 12, 0
	v_add_nc_u32_e32 v29, v18, v10
	global_wb scope:SCOPE_SE
	s_wait_dscnt 0x0
	s_barrier_signal -1
	s_barrier_wait -1
	global_inv scope:SCOPE_SE
	v_cmp_gt_u32_e64 s0, 18, v3
	v_add_nc_u32_e32 v30, v19, v10
	v_pk_add_f16 v32, v28, v13
	v_pk_add_f16 v37, v13, v15
	v_pk_add_f16 v13, v13, v15 neg_lo:[0,1] neg_hi:[0,1]
	v_pk_add_f16 v33, v14, v23
	v_pk_add_f16 v38, v20, v26 neg_lo:[0,1] neg_hi:[0,1]
	v_pk_add_f16 v32, v32, v15
	v_pk_add_f16 v15, v20, v26
	v_pk_fma_f16 v28, v37, 0.5, v28 op_sel_hi:[1,0,1] neg_lo:[1,0,0] neg_hi:[1,0,0]
	v_pk_mul_f16 v13, 0x3aee, v13 op_sel_hi:[0,1]
	v_pk_add_f16 v34, v14, v23 neg_lo:[0,1] neg_hi:[0,1]
	v_pk_add_f16 v35, v25, v21
	v_pk_add_f16 v39, v21, v27
	v_pk_add_f16 v40, v21, v27 neg_lo:[0,1] neg_hi:[0,1]
	v_pk_fma_f16 v21, v33, 0.5, v12 op_sel_hi:[1,0,1] neg_lo:[1,0,0] neg_hi:[1,0,0]
	v_pk_add_f16 v36, v24, v20
	v_pk_fma_f16 v15, v15, 0.5, v24 op_sel_hi:[1,0,1] neg_lo:[1,0,0] neg_hi:[1,0,0]
	v_pk_mul_f16 v24, 0x3aee, v38 op_sel_hi:[0,1]
	v_pk_add_f16 v33, v28, v13 op_sel:[0,1] op_sel_hi:[1,0]
	v_pk_add_f16 v28, v28, v13 op_sel:[0,1] op_sel_hi:[1,0] neg_lo:[0,1] neg_hi:[0,1]
	v_pk_fma_f16 v20, 0x3aee, v34, v21 op_sel:[0,0,1] op_sel_hi:[0,1,0]
	v_pk_fma_f16 v21, 0x3aee, v34, v21 op_sel:[0,0,1] op_sel_hi:[0,1,0] neg_lo:[0,1,0] neg_hi:[0,1,0]
	v_pk_fma_f16 v25, v39, 0.5, v25 op_sel_hi:[1,0,1] neg_lo:[1,0,0] neg_hi:[1,0,0]
	v_pk_mul_f16 v34, 0x3aee, v40 op_sel_hi:[0,1]
	v_pk_add_f16 v27, v35, v27
	v_bfi_b32 v35, 0xffff, v33, v28
	v_bfi_b32 v28, 0xffff, v28, v33
	v_pk_add_f16 v33, v15, v24 op_sel:[0,1] op_sel_hi:[1,0]
	v_pk_add_f16 v15, v15, v24 op_sel:[0,1] op_sel_hi:[1,0] neg_lo:[0,1] neg_hi:[0,1]
	v_pk_add_f16 v24, v25, v34 op_sel:[0,1] op_sel_hi:[1,0]
	v_pk_add_f16 v25, v25, v34 op_sel:[0,1] op_sel_hi:[1,0] neg_lo:[0,1] neg_hi:[0,1]
	v_pk_add_f16 v26, v36, v26
	v_lshrrev_b32_e32 v13, 16, v20
	ds_store_2addr_b32 v31, v32, v35 offset1:1
	ds_store_b32 v31, v28 offset:8
	v_bfi_b32 v28, 0xffff, v33, v15
	v_bfi_b32 v15, 0xffff, v15, v33
	;; [unrolled: 1-line block ×4, first 2 shown]
	ds_store_2addr_b32 v29, v26, v28 offset1:1
	ds_store_b32 v29, v15 offset:8
	ds_store_2addr_b32 v30, v27, v31 offset1:1
	ds_store_b32 v30, v24 offset:8
	s_and_saveexec_b32 s1, s0
	s_cbranch_execz .LBB0_15
; %bb.14:
	v_mul_i32_i24_e32 v15, 12, v9
	v_pk_add_f16 v12, v12, v14
	v_perm_b32 v14, v21, v13, 0x5040100
	s_delay_alu instid0(VALU_DEP_3) | instskip(NEXT) | instid1(VALU_DEP_3)
	v_add3_u32 v15, 0, v15, v10
	v_pk_add_f16 v12, v12, v23
	v_alignbit_b32 v23, v20, v21, 16
	ds_store_b32 v15, v12
	ds_store_2addr_b32 v15, v14, v23 offset0:1 offset1:2
.LBB0_15:
	s_wait_alu 0xfffe
	s_or_b32 exec_lo, exec_lo, s1
	v_and_b32_e32 v12, 0xff, v3
	global_wb scope:SCOPE_SE
	s_wait_dscnt 0x0
	s_barrier_signal -1
	s_barrier_wait -1
	global_inv scope:SCOPE_SE
	v_mul_lo_u16 v12, 0xab, v12
	v_lshlrev_b32_e32 v15, 3, v11
	v_lshlrev_b32_e32 v25, 2, v9
	v_cmp_gt_u32_e64 s1, 36, v3
	s_delay_alu instid0(VALU_DEP_4) | instskip(NEXT) | instid1(VALU_DEP_4)
	v_lshrrev_b16 v12, 9, v12
	v_sub_nc_u32_e32 v19, v19, v15
	s_delay_alu instid0(VALU_DEP_4) | instskip(NEXT) | instid1(VALU_DEP_3)
	v_add3_u32 v25, 0, v25, v10
	v_mul_lo_u16 v14, v12, 3
	v_and_b32_e32 v12, 0xffff, v12
	s_delay_alu instid0(VALU_DEP_2) | instskip(NEXT) | instid1(VALU_DEP_2)
	v_sub_nc_u16 v14, v3, v14
	v_mad_u32_u24 v12, 0x78, v12, 0
	s_delay_alu instid0(VALU_DEP_2) | instskip(NEXT) | instid1(VALU_DEP_1)
	v_and_b32_e32 v36, 0xff, v14
	v_mul_u32_u24_e32 v14, 9, v36
	v_lshlrev_b32_e32 v36, 2, v36
	s_delay_alu instid0(VALU_DEP_2) | instskip(NEXT) | instid1(VALU_DEP_2)
	v_lshlrev_b32_e32 v14, 2, v14
	v_add3_u32 v36, v12, v36, v10
	s_clause 0x2
	global_load_b128 v[26:29], v14, s[8:9]
	global_load_b128 v[30:33], v14, s[8:9] offset:16
	global_load_b32 v37, v14, s[8:9] offset:32
	v_lshlrev_b32_e32 v14, 3, v7
	s_delay_alu instid0(VALU_DEP_1)
	v_sub_nc_u32_e32 v23, v18, v14
	ds_load_b32 v38, v22
	ds_load_2addr_b32 v[14:15], v16 offset0:68 offset1:122
	ds_load_2addr_b32 v[17:18], v17 offset0:88 offset1:142
	;; [unrolled: 1-line block ×3, first 2 shown]
	v_add_nc_u32_e32 v24, v23, v10
	v_add_nc_u32_e32 v23, v19, v10
	ds_load_b32 v19, v24
	ds_load_b32 v39, v23
	;; [unrolled: 1-line block ×3, first 2 shown]
	global_wb scope:SCOPE_SE
	s_wait_loadcnt_dscnt 0x0
	s_barrier_signal -1
	s_barrier_wait -1
	global_inv scope:SCOPE_SE
	v_lshrrev_b32_e32 v41, 16, v38
	v_lshrrev_b32_e32 v42, 16, v14
	;; [unrolled: 1-line block ×19, first 2 shown]
	v_mul_f16_e32 v59, v12, v48
	v_mul_f16_e32 v12, v12, v19
	;; [unrolled: 1-line block ×18, first 2 shown]
	v_fma_f16 v19, v26, v19, -v59
	v_fmac_f16_e32 v12, v26, v48
	v_fma_f16 v26, v27, v39, -v60
	v_fmac_f16_e32 v51, v27, v49
	;; [unrolled: 2-line block ×9, first 2 shown]
	v_add_f16_e32 v30, v38, v26
	v_add_f16_e32 v31, v17, v14
	v_sub_f16_e32 v32, v51, v57
	v_sub_f16_e32 v34, v26, v17
	;; [unrolled: 1-line block ×3, first 2 shown]
	v_add_f16_e32 v37, v26, v28
	v_add_f16_e32 v42, v41, v51
	;; [unrolled: 1-line block ×3, first 2 shown]
	v_sub_f16_e32 v45, v51, v53
	v_add_f16_e32 v47, v51, v57
	v_sub_f16_e32 v48, v53, v51
	v_add_f16_e32 v50, v19, v27
	v_add_f16_e32 v51, v18, v15
	;; [unrolled: 1-line block ×5, first 2 shown]
	v_sub_f16_e32 v39, v17, v26
	v_sub_f16_e32 v40, v14, v28
	;; [unrolled: 1-line block ×7, first 2 shown]
	v_add_f16_e32 v66, v12, v52
	v_sub_f16_e32 v27, v27, v29
	v_sub_f16_e32 v68, v18, v15
	v_add_f16_e32 v17, v30, v17
	v_fma_f16 v30, -0.5, v31, v38
	v_add_f16_e32 v31, v34, v35
	v_fmac_f16_e32 v38, -0.5, v37
	v_add_f16_e32 v35, v42, v53
	v_fma_f16 v37, -0.5, v43, v41
	v_fmac_f16_e32 v41, -0.5, v47
	v_add_f16_e32 v18, v50, v18
	v_fma_f16 v42, -0.5, v51, v19
	v_fma_f16 v47, -0.5, v67, v12
	v_sub_f16_e32 v60, v54, v56
	v_fmac_f16_e32 v19, -0.5, v63
	v_fmac_f16_e32 v12, -0.5, v71
	v_sub_f16_e32 v49, v55, v57
	v_sub_f16_e32 v62, v29, v15
	;; [unrolled: 1-line block ×7, first 2 shown]
	v_add_f16_e32 v34, v39, v40
	v_add_f16_e32 v39, v45, v46
	v_add_f16_e32 v46, v66, v54
	v_add_f16_e32 v15, v18, v15
	v_fmamk_f16 v18, v59, 0x3b9c, v42
	v_fmamk_f16 v54, v27, 0xbb9c, v47
	v_sub_f16_e32 v33, v53, v55
	v_add_f16_e32 v35, v35, v55
	v_fmamk_f16 v53, v60, 0xbb9c, v19
	v_fmac_f16_e32 v19, 0x3b9c, v60
	v_fmamk_f16 v55, v68, 0x3b9c, v12
	v_fmac_f16_e32 v12, 0xbb9c, v68
	v_sub_f16_e32 v26, v26, v28
	v_fmac_f16_e32 v42, 0xbb9c, v59
	v_fmac_f16_e32 v47, 0x3b9c, v27
	v_add_f16_e32 v40, v48, v49
	v_add_f16_e32 v43, v61, v62
	;; [unrolled: 1-line block ×5, first 2 shown]
	v_fmamk_f16 v52, v44, 0x3b9c, v41
	v_fmac_f16_e32 v41, 0xbb9c, v44
	v_add_f16_e32 v46, v46, v56
	v_fmac_f16_e32 v18, 0x38b4, v60
	v_fmac_f16_e32 v54, 0xb8b4, v68
	v_add_f16_e32 v45, v64, v65
	v_fmamk_f16 v17, v32, 0x3b9c, v30
	v_fmac_f16_e32 v30, 0xbb9c, v32
	v_fmamk_f16 v50, v33, 0xbb9c, v38
	v_fmac_f16_e32 v38, 0x3b9c, v33
	v_fmac_f16_e32 v53, 0x38b4, v59
	;; [unrolled: 1-line block ×5, first 2 shown]
	v_fmamk_f16 v51, v26, 0xbb9c, v37
	v_fmac_f16_e32 v37, 0x3b9c, v26
	v_fmac_f16_e32 v42, 0xb8b4, v60
	;; [unrolled: 1-line block ×3, first 2 shown]
	v_add_f16_e32 v14, v14, v28
	v_add_f16_e32 v28, v35, v57
	v_fmac_f16_e32 v52, 0xb8b4, v26
	v_fmac_f16_e32 v41, 0x38b4, v26
	v_add_f16_e32 v15, v15, v29
	v_add_f16_e32 v26, v46, v58
	v_fmac_f16_e32 v18, 0x34f2, v43
	v_fmac_f16_e32 v54, 0x34f2, v48
	;; [unrolled: 1-line block ×14, first 2 shown]
	v_add_f16_e32 v27, v14, v15
	v_add_f16_e32 v29, v28, v26
	v_sub_f16_e32 v14, v14, v15
	v_sub_f16_e32 v15, v28, v26
	v_mul_f16_e32 v26, 0x38b4, v54
	v_mul_f16_e32 v33, 0xb8b4, v18
	v_fmac_f16_e32 v17, 0x34f2, v31
	v_fmac_f16_e32 v30, 0x34f2, v31
	;; [unrolled: 1-line block ×4, first 2 shown]
	v_mul_f16_e32 v28, 0x3b9c, v55
	v_mul_f16_e32 v31, 0x34f2, v19
	;; [unrolled: 1-line block ×4, first 2 shown]
	v_fmac_f16_e32 v51, 0x34f2, v39
	v_fmac_f16_e32 v37, 0x34f2, v39
	v_mul_f16_e32 v32, 0x3a79, v42
	v_mul_f16_e32 v39, 0x3a79, v47
	v_fmac_f16_e32 v26, 0x3a79, v18
	v_fmac_f16_e32 v33, 0x3a79, v54
	;; [unrolled: 1-line block ×5, first 2 shown]
	v_fma_f16 v12, v12, 0x3b9c, -v31
	v_fmac_f16_e32 v34, 0x34f2, v55
	v_fma_f16 v19, v19, 0xbb9c, -v35
	v_pack_b32_f16 v40, v27, v29
	v_fma_f16 v18, v47, 0x38b4, -v32
	v_fma_f16 v29, v42, 0xb8b4, -v39
	v_add_f16_e32 v32, v17, v26
	v_add_f16_e32 v44, v51, v33
	;; [unrolled: 1-line block ×8, first 2 shown]
	v_pack_b32_f16 v43, v14, v15
	v_sub_f16_e32 v26, v17, v26
	v_sub_f16_e32 v14, v50, v28
	;; [unrolled: 1-line block ×8, first 2 shown]
	v_pack_b32_f16 v17, v32, v44
	v_pack_b32_f16 v18, v35, v45
	;; [unrolled: 1-line block ×8, first 2 shown]
	ds_store_2addr_b32 v36, v40, v17 offset1:3
	ds_store_2addr_b32 v36, v18, v19 offset0:6 offset1:9
	ds_store_2addr_b32 v36, v28, v43 offset0:12 offset1:15
	;; [unrolled: 1-line block ×4, first 2 shown]
	global_wb scope:SCOPE_SE
	s_wait_dscnt 0x0
	s_barrier_signal -1
	s_barrier_wait -1
	global_inv scope:SCOPE_SE
	ds_load_2addr_b32 v[18:19], v8 offset0:90 offset1:180
	ds_load_2addr_b32 v[16:17], v16 offset0:14 offset1:104
	ds_load_b32 v28, v22
	ds_load_b32 v35, v8 offset:1800
	v_lshrrev_b32_e32 v32, 16, v21
	s_and_saveexec_b32 s2, s1
	s_cbranch_execz .LBB0_17
; %bb.16:
	v_add_nc_u32_e32 v12, 0x400, v8
	ds_load_b32 v26, v24
	ds_load_b32 v32, v8 offset:2016
	ds_load_2addr_b32 v[14:15], v8 offset0:144 offset1:234
	ds_load_2addr_b32 v[12:13], v12 offset0:68 offset1:158
	s_wait_dscnt 0x3
	v_lshrrev_b32_e32 v27, 16, v26
	s_wait_dscnt 0x2
	v_lshrrev_b32_e32 v20, 16, v32
	;; [unrolled: 2-line block ×4, first 2 shown]
	v_lshrrev_b32_e32 v21, 16, v13
	v_lshrrev_b32_e32 v31, 16, v15
.LBB0_17:
	s_wait_alu 0xfffe
	s_or_b32 exec_lo, exec_lo, s2
	v_subrev_nc_u32_e32 v33, 30, v3
	v_cmp_gt_u32_e64 s2, 30, v3
	v_and_b32_e32 v36, 0xff, v7
	v_mov_b32_e32 v34, 0
	s_wait_dscnt 0x3
	v_lshrrev_b32_e32 v49, 16, v18
	v_lshrrev_b32_e32 v50, 16, v19
	s_wait_alu 0xf1ff
	v_cndmask_b32_e64 v44, v33, v3, s2
	v_mul_lo_u16 v38, 0x89, v36
	s_wait_dscnt 0x2
	v_lshrrev_b32_e32 v51, 16, v16
	v_lshrrev_b32_e32 v52, 16, v17
	s_wait_dscnt 0x0
	v_lshrrev_b32_e32 v53, 16, v35
	v_mul_i32_i24_e32 v33, 5, v44
	v_lshlrev_b32_e32 v44, 2, v44
	v_lshrrev_b32_e32 v48, 16, v28
	s_delay_alu instid0(VALU_DEP_3) | instskip(SKIP_1) | instid1(VALU_DEP_1)
	v_lshlrev_b64_e32 v[36:37], 2, v[33:34]
	v_lshrrev_b16 v33, 12, v38
	v_mul_lo_u16 v34, v33, 30
	s_delay_alu instid0(VALU_DEP_3) | instskip(SKIP_1) | instid1(VALU_DEP_4)
	v_add_co_u32 v40, s2, s8, v36
	s_wait_alu 0xf1ff
	v_add_co_ci_u32_e64 v41, s2, s9, v37, s2
	s_delay_alu instid0(VALU_DEP_3)
	v_sub_nc_u16 v34, v7, v34
	s_clause 0x1
	global_load_b128 v[36:39], v[40:41], off offset:108
	global_load_b32 v45, v[40:41], off offset:124
	v_cmp_lt_u32_e64 s2, 29, v3
	v_and_b32_e32 v34, 0xff, v34
	s_wait_alu 0xf1ff
	s_delay_alu instid0(VALU_DEP_2) | instskip(NEXT) | instid1(VALU_DEP_2)
	v_cndmask_b32_e64 v47, 0, 0x2d0, s2
	v_mul_u32_u24_e32 v40, 5, v34
	s_delay_alu instid0(VALU_DEP_2) | instskip(NEXT) | instid1(VALU_DEP_2)
	v_add_nc_u32_e32 v47, 0, v47
	v_lshlrev_b32_e32 v46, 2, v40
	s_clause 0x1
	global_load_b128 v[40:43], v46, s[8:9] offset:108
	global_load_b32 v46, v46, s[8:9] offset:124
	v_add3_u32 v44, v47, v44, v10
	global_wb scope:SCOPE_SE
	s_wait_loadcnt 0x0
	s_barrier_signal -1
	s_barrier_wait -1
	global_inv scope:SCOPE_SE
	v_lshrrev_b32_e32 v47, 16, v36
	v_lshrrev_b32_e32 v54, 16, v37
	;; [unrolled: 1-line block ×5, first 2 shown]
	v_mul_f16_e32 v58, v47, v49
	v_mul_f16_e32 v47, v47, v18
	;; [unrolled: 1-line block ×10, first 2 shown]
	v_fma_f16 v18, v36, v18, -v58
	v_fmac_f16_e32 v47, v36, v49
	v_fma_f16 v19, v37, v19, -v59
	v_fmac_f16_e32 v54, v37, v50
	v_fma_f16 v16, v38, v16, -v60
	v_fmac_f16_e32 v55, v38, v51
	v_fma_f16 v17, v39, v17, -v61
	v_fmac_f16_e32 v56, v39, v52
	v_fma_f16 v35, v45, v35, -v62
	v_fmac_f16_e32 v57, v45, v53
	v_lshrrev_b32_e32 v36, 16, v40
	v_lshrrev_b32_e32 v38, 16, v42
	;; [unrolled: 1-line block ×5, first 2 shown]
	v_add_f16_e32 v49, v28, v19
	v_add_f16_e32 v50, v19, v17
	;; [unrolled: 1-line block ×3, first 2 shown]
	v_sub_f16_e32 v59, v55, v57
	v_add_f16_e32 v60, v47, v55
	v_add_f16_e32 v55, v55, v57
	v_mul_f16_e32 v61, v30, v36
	v_mul_f16_e32 v36, v14, v36
	v_mul_f16_e32 v63, v29, v38
	v_mul_f16_e32 v38, v12, v38
	v_mul_f16_e32 v64, v21, v39
	v_mul_f16_e32 v39, v13, v39
	v_mul_f16_e32 v65, v20, v45
	v_mul_f16_e32 v45, v32, v45
	v_sub_f16_e32 v51, v54, v56
	v_add_f16_e32 v53, v54, v56
	v_sub_f16_e32 v19, v19, v17
	v_add_f16_e32 v54, v18, v16
	v_add_f16_e32 v58, v16, v35
	v_sub_f16_e32 v16, v16, v35
	v_mul_f16_e32 v62, v31, v37
	v_mul_f16_e32 v37, v15, v37
	v_add_f16_e32 v17, v49, v17
	v_fmac_f16_e32 v28, -0.5, v50
	v_add_f16_e32 v49, v52, v56
	v_add_f16_e32 v50, v60, v57
	v_fmac_f16_e32 v47, -0.5, v55
	v_fmac_f16_e32 v36, v30, v40
	v_fma_f16 v12, v12, v42, -v63
	v_fmac_f16_e32 v38, v29, v42
	v_fmac_f16_e32 v39, v21, v43
	v_fma_f16 v21, v32, v46, -v65
	v_fmac_f16_e32 v45, v20, v46
	v_fmac_f16_e32 v48, -0.5, v53
	v_fmac_f16_e32 v18, -0.5, v58
	v_fma_f16 v52, v14, v40, -v61
	v_fma_f16 v14, v15, v41, -v62
	v_fmac_f16_e32 v37, v31, v41
	v_fmamk_f16 v29, v16, 0xbaee, v47
	v_fmac_f16_e32 v47, 0x3aee, v16
	v_add_f16_e32 v16, v49, v50
	v_sub_f16_e32 v30, v49, v50
	v_add_f16_e32 v46, v12, v21
	v_sub_f16_e32 v49, v38, v45
	v_add_f16_e32 v50, v36, v38
	v_add_f16_e32 v38, v38, v45
	;; [unrolled: 1-line block ×3, first 2 shown]
	v_fma_f16 v13, v13, v43, -v64
	v_fmamk_f16 v20, v51, 0x3aee, v28
	v_fmac_f16_e32 v28, 0xbaee, v51
	v_fmamk_f16 v31, v19, 0xbaee, v48
	v_fmac_f16_e32 v48, 0x3aee, v19
	v_fmamk_f16 v19, v59, 0x3aee, v18
	v_fmac_f16_e32 v18, 0xbaee, v59
	v_add_f16_e32 v32, v26, v14
	v_sub_f16_e32 v40, v37, v39
	v_add_f16_e32 v41, v27, v37
	v_add_f16_e32 v37, v37, v39
	;; [unrolled: 1-line block ×3, first 2 shown]
	v_sub_f16_e32 v12, v12, v21
	v_mul_f16_e32 v51, 0x3aee, v29
	v_fmac_f16_e32 v52, -0.5, v46
	v_fmac_f16_e32 v36, -0.5, v38
	v_add_f16_e32 v15, v17, v35
	v_sub_f16_e32 v17, v17, v35
	v_add_f16_e32 v35, v14, v13
	v_sub_f16_e32 v42, v14, v13
	v_mul_f16_e32 v53, -0.5, v18
	v_mul_f16_e32 v54, 0xbaee, v19
	v_mul_f16_e32 v55, -0.5, v47
	v_add_f16_e32 v14, v32, v13
	v_fmac_f16_e32 v27, -0.5, v37
	v_fmac_f16_e32 v51, 0.5, v19
	v_fmamk_f16 v13, v49, 0x3aee, v52
	v_fmac_f16_e32 v52, 0xbaee, v49
	v_fmamk_f16 v37, v12, 0xbaee, v36
	v_fmac_f16_e32 v36, 0x3aee, v12
	v_pack_b32_f16 v56, v15, v16
	v_fmac_f16_e32 v26, -0.5, v35
	v_add_f16_e32 v15, v41, v39
	v_add_f16_e32 v16, v43, v21
	v_fmac_f16_e32 v53, 0x3aee, v47
	v_fmac_f16_e32 v54, 0.5, v29
	v_fmac_f16_e32 v55, 0xbaee, v18
	v_add_f16_e32 v12, v20, v51
	v_sub_f16_e32 v41, v20, v51
	v_mul_f16_e32 v20, 0x3aee, v37
	v_mul_f16_e32 v21, -0.5, v52
	v_mul_f16_e32 v32, 0xbaee, v13
	v_mul_f16_e32 v35, -0.5, v36
	v_pack_b32_f16 v57, v17, v30
	v_add_f16_e32 v17, v50, v45
	v_fmamk_f16 v18, v40, 0x3aee, v26
	v_fmac_f16_e32 v26, 0xbaee, v40
	v_fmamk_f16 v19, v42, 0xbaee, v27
	v_fmac_f16_e32 v27, 0x3aee, v42
	v_add_f16_e32 v38, v28, v53
	v_add_f16_e32 v39, v31, v54
	;; [unrolled: 1-line block ×3, first 2 shown]
	v_sub_f16_e32 v28, v28, v53
	v_sub_f16_e32 v31, v31, v54
	;; [unrolled: 1-line block ×3, first 2 shown]
	v_fmac_f16_e32 v20, 0.5, v13
	v_fmac_f16_e32 v21, 0x3aee, v36
	v_fmac_f16_e32 v32, 0.5, v37
	v_fmac_f16_e32 v35, 0xbaee, v52
	v_sub_f16_e32 v29, v14, v16
	v_sub_f16_e32 v30, v15, v17
	v_pack_b32_f16 v39, v12, v39
	v_pack_b32_f16 v38, v38, v40
	;; [unrolled: 1-line block ×4, first 2 shown]
	v_sub_f16_e32 v12, v18, v20
	v_sub_f16_e32 v13, v26, v21
	;; [unrolled: 1-line block ×4, first 2 shown]
	ds_store_2addr_b32 v44, v56, v39 offset1:30
	ds_store_2addr_b32 v44, v38, v57 offset0:60 offset1:90
	ds_store_2addr_b32 v44, v40, v36 offset0:120 offset1:150
	s_and_saveexec_b32 s2, s1
	s_cbranch_execz .LBB0_19
; %bb.18:
	v_and_b32_e32 v33, 0xffff, v33
	v_add_f16_e32 v19, v19, v32
	v_add_f16_e32 v15, v15, v17
	;; [unrolled: 1-line block ×3, first 2 shown]
	v_lshlrev_b32_e32 v17, 2, v34
	v_mad_u32_u24 v16, 0x2d0, v33, 0
	v_add_f16_e32 v18, v18, v20
	v_add_f16_e32 v27, v27, v35
	;; [unrolled: 1-line block ×3, first 2 shown]
	v_pack_b32_f16 v14, v14, v15
	v_add3_u32 v10, v16, v17, v10
	v_pack_b32_f16 v15, v18, v19
	v_perm_b32 v17, v30, v29, 0x5040100
	v_pack_b32_f16 v16, v20, v27
	v_perm_b32 v18, v31, v12, 0x5040100
	v_perm_b32 v19, v28, v13, 0x5040100
	ds_store_2addr_b32 v10, v14, v15 offset1:30
	ds_store_2addr_b32 v10, v16, v17 offset0:60 offset1:90
	ds_store_2addr_b32 v10, v18, v19 offset0:120 offset1:150
.LBB0_19:
	s_wait_alu 0xfffe
	s_or_b32 exec_lo, exec_lo, s2
	v_add_nc_u32_e32 v10, 0x400, v8
	global_wb scope:SCOPE_SE
	s_wait_dscnt 0x0
	s_barrier_signal -1
	s_barrier_wait -1
	global_inv scope:SCOPE_SE
	ds_load_2addr_b32 v[20:21], v8 offset0:180 offset1:234
	ds_load_2addr_b32 v[16:17], v10 offset0:32 offset1:104
	;; [unrolled: 1-line block ×3, first 2 shown]
	ds_load_b32 v27, v22
	ds_load_b32 v26, v24
	;; [unrolled: 1-line block ×3, first 2 shown]
	s_and_saveexec_b32 s1, s0
	s_cbranch_execz .LBB0_21
; %bb.20:
	v_add_nc_u32_e32 v12, 0x500, v8
	ds_load_b32 v29, v25
	ds_load_2addr_b32 v[12:13], v12 offset0:22 offset1:202
	s_wait_dscnt 0x1
	v_lshrrev_b32_e32 v30, 16, v29
	s_wait_dscnt 0x0
	v_lshrrev_b32_e32 v28, 16, v13
	v_lshrrev_b32_e32 v31, 16, v12
.LBB0_21:
	s_wait_alu 0xfffe
	s_or_b32 exec_lo, exec_lo, s1
	v_dual_mov_b32 v15, 0 :: v_dual_lshlrev_b32 v14, 1, v3
	s_wait_dscnt 0x4
	v_lshrrev_b32_e32 v43, 16, v17
	v_lshrrev_b32_e32 v44, 16, v20
	s_wait_dscnt 0x3
	v_lshrrev_b32_e32 v41, 16, v18
	v_lshrrev_b32_e32 v42, 16, v21
	v_lshlrev_b64_e32 v[32:33], 2, v[14:15]
	v_lshlrev_b32_e32 v14, 1, v7
	v_lshrrev_b32_e32 v39, 16, v19
	v_lshrrev_b32_e32 v40, 16, v16
	s_wait_dscnt 0x1
	v_lshrrev_b32_e32 v25, 16, v26
	s_wait_dscnt 0x0
	v_lshrrev_b32_e32 v38, 16, v10
	v_lshlrev_b64_e32 v[34:35], 2, v[14:15]
	v_lshlrev_b32_e32 v14, 1, v11
	v_add_co_u32 v32, s1, s8, v32
	s_wait_alu 0xf1ff
	v_add_co_ci_u32_e64 v33, s1, s9, v33, s1
	s_delay_alu instid0(VALU_DEP_3)
	v_lshlrev_b64_e32 v[36:37], 2, v[14:15]
	v_add_co_u32 v34, s1, s8, v34
	global_load_b64 v[32:33], v[32:33], off offset:708
	s_wait_alu 0xf1ff
	v_add_co_ci_u32_e64 v35, s1, s9, v35, s1
	v_add_co_u32 v36, s1, s8, v36
	s_wait_alu 0xf1ff
	v_add_co_ci_u32_e64 v37, s1, s9, v37, s1
	global_load_b64 v[34:35], v[34:35], off offset:708
	v_lshrrev_b32_e32 v14, 16, v27
	global_load_b64 v[36:37], v[36:37], off offset:708
	global_wb scope:SCOPE_SE
	s_wait_loadcnt 0x0
	s_barrier_signal -1
	s_barrier_wait -1
	global_inv scope:SCOPE_SE
	v_lshrrev_b32_e32 v45, 16, v32
	v_lshrrev_b32_e32 v46, 16, v33
	s_delay_alu instid0(VALU_DEP_2) | instskip(SKIP_1) | instid1(VALU_DEP_3)
	v_mul_f16_e32 v47, v45, v44
	v_mul_f16_e32 v45, v45, v20
	;; [unrolled: 1-line block ×4, first 2 shown]
	v_lshrrev_b32_e32 v49, 16, v34
	v_lshrrev_b32_e32 v50, 16, v35
	v_fma_f16 v20, v32, v20, -v47
	v_fmac_f16_e32 v45, v32, v44
	v_fma_f16 v17, v33, v17, -v48
	v_fmac_f16_e32 v46, v33, v43
	v_mul_f16_e32 v32, v49, v42
	v_mul_f16_e32 v33, v49, v21
	;; [unrolled: 1-line block ×4, first 2 shown]
	v_lshrrev_b32_e32 v47, 16, v36
	v_lshrrev_b32_e32 v48, 16, v37
	v_fma_f16 v21, v34, v21, -v32
	v_fmac_f16_e32 v33, v34, v42
	v_fma_f16 v18, v35, v18, -v43
	v_fmac_f16_e32 v44, v35, v41
	v_mul_f16_e32 v32, v47, v40
	v_mul_f16_e32 v34, v47, v16
	;; [unrolled: 1-line block ×4, first 2 shown]
	v_sub_f16_e32 v47, v45, v46
	v_add_f16_e32 v48, v14, v45
	v_add_f16_e32 v45, v45, v46
	;; [unrolled: 1-line block ×4, first 2 shown]
	v_sub_f16_e32 v20, v20, v17
	v_fma_f16 v16, v36, v16, -v32
	v_fmac_f16_e32 v34, v36, v40
	v_fma_f16 v19, v37, v19, -v35
	v_fmac_f16_e32 v41, v37, v39
	v_fmac_f16_e32 v14, -0.5, v45
	v_add_f16_e32 v35, v26, v21
	v_add_f16_e32 v36, v21, v18
	;; [unrolled: 1-line block ×3, first 2 shown]
	v_sub_f16_e32 v37, v33, v44
	v_add_f16_e32 v33, v33, v44
	v_fmac_f16_e32 v27, -0.5, v43
	v_add_f16_e32 v17, v42, v17
	v_sub_f16_e32 v21, v21, v18
	v_fmamk_f16 v42, v20, 0xbaee, v14
	v_fmac_f16_e32 v14, 0x3aee, v20
	v_add_f16_e32 v18, v35, v18
	v_fmac_f16_e32 v26, -0.5, v36
	v_add_f16_e32 v20, v39, v44
	v_add_f16_e32 v35, v16, v19
	v_sub_f16_e32 v36, v34, v41
	v_add_f16_e32 v39, v38, v34
	v_add_f16_e32 v34, v34, v41
	;; [unrolled: 1-line block ×3, first 2 shown]
	v_fmac_f16_e32 v25, -0.5, v33
	v_fmamk_f16 v40, v47, 0x3aee, v27
	v_add_f16_e32 v33, v10, v16
	v_fmac_f16_e32 v27, 0xbaee, v47
	v_sub_f16_e32 v16, v16, v19
	v_fmac_f16_e32 v10, -0.5, v35
	v_fmac_f16_e32 v38, -0.5, v34
	v_pack_b32_f16 v17, v17, v32
	v_fmamk_f16 v32, v37, 0x3aee, v26
	v_fmac_f16_e32 v26, 0xbaee, v37
	v_fmamk_f16 v37, v21, 0xbaee, v25
	v_fmac_f16_e32 v25, 0x3aee, v21
	v_add_f16_e32 v19, v33, v19
	v_pack_b32_f16 v33, v40, v42
	v_add_f16_e32 v21, v39, v41
	v_pack_b32_f16 v14, v27, v14
	v_pack_b32_f16 v18, v18, v20
	v_fmamk_f16 v20, v36, 0x3aee, v10
	v_fmamk_f16 v27, v16, 0xbaee, v38
	v_fmac_f16_e32 v10, 0xbaee, v36
	v_fmac_f16_e32 v38, 0x3aee, v16
	v_pack_b32_f16 v16, v32, v37
	ds_store_2addr_b32 v8, v17, v33 offset1:180
	v_pack_b32_f16 v17, v26, v25
	v_pack_b32_f16 v19, v19, v21
	;; [unrolled: 1-line block ×4, first 2 shown]
	ds_store_b32 v8, v14 offset:1440
	ds_store_2addr_b32 v24, v18, v16 offset1:180
	ds_store_b32 v24, v17 offset:1440
	ds_store_2addr_b32 v23, v19, v20 offset1:180
	ds_store_b32 v23, v10 offset:1440
	s_and_saveexec_b32 s1, s0
	s_cbranch_execz .LBB0_23
; %bb.22:
	v_subrev_nc_u32_e32 v10, 18, v3
	s_delay_alu instid0(VALU_DEP_1) | instskip(NEXT) | instid1(VALU_DEP_1)
	v_cndmask_b32_e64 v10, v10, v9, s0
	v_lshlrev_b32_e32 v14, 1, v10
	s_delay_alu instid0(VALU_DEP_1) | instskip(NEXT) | instid1(VALU_DEP_1)
	v_lshlrev_b64_e32 v[14:15], 2, v[14:15]
	v_add_co_u32 v14, s0, s8, v14
	s_wait_alu 0xf1ff
	s_delay_alu instid0(VALU_DEP_2) | instskip(SKIP_4) | instid1(VALU_DEP_2)
	v_add_co_ci_u32_e64 v15, s0, s9, v15, s0
	global_load_b64 v[14:15], v[14:15], off offset:708
	s_wait_loadcnt 0x0
	v_lshrrev_b32_e32 v10, 16, v14
	v_lshrrev_b32_e32 v16, 16, v15
	v_mul_f16_e32 v17, v31, v10
	v_mul_f16_e32 v10, v12, v10
	s_delay_alu instid0(VALU_DEP_3) | instskip(SKIP_1) | instid1(VALU_DEP_4)
	v_mul_f16_e32 v18, v13, v16
	v_mul_f16_e32 v16, v28, v16
	v_fma_f16 v12, v12, v14, -v17
	s_delay_alu instid0(VALU_DEP_4) | instskip(NEXT) | instid1(VALU_DEP_4)
	v_fmac_f16_e32 v10, v31, v14
	v_fmac_f16_e32 v18, v28, v15
	s_delay_alu instid0(VALU_DEP_4) | instskip(NEXT) | instid1(VALU_DEP_3)
	v_fma_f16 v13, v13, v15, -v16
	v_add_f16_e32 v17, v30, v10
	s_delay_alu instid0(VALU_DEP_3) | instskip(NEXT) | instid1(VALU_DEP_3)
	v_add_f16_e32 v14, v10, v18
	v_add_f16_e32 v16, v12, v13
	v_sub_f16_e32 v15, v12, v13
	v_add_f16_e32 v12, v29, v12
	v_sub_f16_e32 v10, v10, v18
	v_fma_f16 v14, -0.5, v14, v30
	v_fma_f16 v16, -0.5, v16, v29
	v_add_f16_e32 v17, v17, v18
	v_add_f16_e32 v12, v12, v13
	s_delay_alu instid0(VALU_DEP_4)
	v_fmamk_f16 v13, v15, 0x3aee, v14
	v_fmac_f16_e32 v14, 0xbaee, v15
	v_fmamk_f16 v15, v10, 0xbaee, v16
	v_fmac_f16_e32 v16, 0x3aee, v10
	v_add_nc_u32_e32 v10, 0x200, v8
	v_pack_b32_f16 v12, v12, v17
	s_delay_alu instid0(VALU_DEP_4) | instskip(NEXT) | instid1(VALU_DEP_4)
	v_pack_b32_f16 v13, v15, v13
	v_pack_b32_f16 v14, v16, v14
	ds_store_2addr_b32 v10, v12, v14 offset0:34 offset1:214
	ds_store_b32 v8, v13 offset:2088
.LBB0_23:
	s_wait_alu 0xfffe
	s_or_b32 exec_lo, exec_lo, s1
	global_wb scope:SCOPE_SE
	s_wait_dscnt 0x0
	s_barrier_signal -1
	s_barrier_wait -1
	global_inv scope:SCOPE_SE
	ds_load_b32 v8, v22
	v_sub_nc_u32_e32 v15, v0, v4
	s_mov_b32 s1, exec_lo
                                        ; implicit-def: $vgpr17
                                        ; implicit-def: $vgpr16
                                        ; implicit-def: $vgpr13_vgpr14
	s_wait_dscnt 0x0
	v_lshrrev_b32_e32 v10, 16, v8
	v_cmpx_ne_u32_e32 0, v3
	s_wait_alu 0xfffe
	s_xor_b32 s1, exec_lo, s1
	s_cbranch_execz .LBB0_25
; %bb.24:
	v_mov_b32_e32 v4, 0
	s_delay_alu instid0(VALU_DEP_1) | instskip(NEXT) | instid1(VALU_DEP_1)
	v_lshlrev_b64_e32 v[12:13], 2, v[3:4]
	v_add_co_u32 v12, s0, s8, v12
	s_wait_alu 0xf1ff
	s_delay_alu instid0(VALU_DEP_2)
	v_add_co_ci_u32_e64 v13, s0, s9, v13, s0
	global_load_b32 v12, v[12:13], off offset:2148
	ds_load_b32 v13, v15 offset:2160
	s_wait_dscnt 0x0
	v_lshrrev_b32_e32 v14, 16, v13
	v_sub_f16_e32 v16, v8, v13
	v_add_f16_e32 v8, v13, v8
	s_delay_alu instid0(VALU_DEP_3) | instskip(SKIP_1) | instid1(VALU_DEP_4)
	v_add_f16_e32 v17, v14, v10
	v_sub_f16_e32 v10, v10, v14
	v_mul_f16_e32 v14, 0.5, v16
	s_delay_alu instid0(VALU_DEP_3) | instskip(NEXT) | instid1(VALU_DEP_3)
	v_mul_f16_e32 v17, 0.5, v17
	v_mul_f16_e32 v10, 0.5, v10
	s_wait_loadcnt 0x0
	v_lshrrev_b32_e32 v16, 16, v12
	s_delay_alu instid0(VALU_DEP_1) | instskip(NEXT) | instid1(VALU_DEP_3)
	v_mul_f16_e32 v13, v16, v14
	v_fma_f16 v18, v17, v16, v10
	v_fma_f16 v10, v17, v16, -v10
	s_delay_alu instid0(VALU_DEP_3) | instskip(SKIP_1) | instid1(VALU_DEP_4)
	v_fma_f16 v16, 0.5, v8, v13
	v_fma_f16 v8, v8, 0.5, -v13
	v_fma_f16 v18, -v12, v14, v18
	s_delay_alu instid0(VALU_DEP_4)
	v_fma_f16 v10, -v12, v14, v10
	v_dual_mov_b32 v14, v4 :: v_dual_mov_b32 v13, v3
	v_fmac_f16_e32 v16, v12, v17
	v_fma_f16 v17, -v12, v17, v8
	ds_store_b16 v22, v18 offset:2
	ds_store_b16 v15, v10 offset:2162
                                        ; implicit-def: $vgpr10
                                        ; implicit-def: $vgpr8
.LBB0_25:
	s_wait_alu 0xfffe
	s_and_not1_saveexec_b32 s0, s1
	s_cbranch_execz .LBB0_27
; %bb.26:
	v_dual_mov_b32 v4, 0 :: v_dual_mov_b32 v13, 0
	v_add_f16_e32 v16, v10, v8
	v_mov_b32_e32 v14, 0
	v_sub_f16_e32 v17, v8, v10
	ds_store_b16 v22, v4 offset:2
	ds_store_b16 v15, v4 offset:2162
	ds_load_u16 v4, v0 offset:1082
	s_wait_dscnt 0x0
	v_xor_b32_e32 v4, 0x8000, v4
	ds_store_b16 v0, v4 offset:1082
.LBB0_27:
	s_wait_alu 0xfffe
	s_or_b32 exec_lo, exec_lo, s0
	v_mov_b32_e32 v8, 0
	s_delay_alu instid0(VALU_DEP_1) | instskip(SKIP_3) | instid1(VALU_DEP_4)
	v_lshlrev_b64_e32 v[18:19], 2, v[7:8]
	v_mov_b32_e32 v12, v8
	v_mov_b32_e32 v10, v8
	v_lshl_add_u32 v7, v7, 2, v0
	v_add_co_u32 v18, s0, s8, v18
	s_wait_alu 0xf1ff
	v_add_co_ci_u32_e64 v19, s0, s9, v19, s0
	global_load_b32 v4, v[18:19], off offset:2148
	v_lshlrev_b64_e32 v[18:19], 2, v[11:12]
	v_lshlrev_b64_e32 v[12:13], 2, v[13:14]
	v_lshl_add_u32 v11, v11, 2, v0
	s_delay_alu instid0(VALU_DEP_3) | instskip(SKIP_1) | instid1(VALU_DEP_4)
	v_add_co_u32 v18, s0, s8, v18
	s_wait_alu 0xf1ff
	v_add_co_ci_u32_e64 v19, s0, s9, v19, s0
	global_load_b32 v20, v[18:19], off offset:2148
	v_lshlrev_b64_e32 v[18:19], 2, v[9:10]
	v_lshl_add_u32 v9, v9, 2, v0
	s_delay_alu instid0(VALU_DEP_2) | instskip(SKIP_1) | instid1(VALU_DEP_3)
	v_add_co_u32 v18, s0, s8, v18
	s_wait_alu 0xf1ff
	v_add_co_ci_u32_e64 v19, s0, s9, v19, s0
	s_add_nc_u64 s[0:1], s[8:9], 0x864
	s_wait_alu 0xfffe
	v_add_co_u32 v12, s0, s0, v12
	global_load_b32 v10, v[18:19], off offset:2148
	s_wait_alu 0xf1ff
	v_add_co_ci_u32_e64 v13, s0, s1, v13, s0
	global_load_b32 v12, v[12:13], off offset:864
	ds_store_b16 v22, v16
	ds_store_b16 v15, v17 offset:2160
	ds_load_b32 v13, v7
	ds_load_b32 v14, v15 offset:1944
	s_wait_dscnt 0x0
	v_pk_add_f16 v16, v13, v14 neg_lo:[0,1] neg_hi:[0,1]
	v_pk_add_f16 v13, v13, v14
	s_delay_alu instid0(VALU_DEP_1) | instskip(SKIP_1) | instid1(VALU_DEP_2)
	v_bfi_b32 v14, 0xffff, v16, v13
	v_bfi_b32 v13, 0xffff, v13, v16
	v_pk_mul_f16 v14, v14, 0.5 op_sel_hi:[1,0]
	s_delay_alu instid0(VALU_DEP_2) | instskip(SKIP_1) | instid1(VALU_DEP_1)
	v_pk_mul_f16 v13, v13, 0.5 op_sel_hi:[1,0]
	s_wait_loadcnt 0x3
	v_pk_fma_f16 v16, v4, v14, v13 op_sel:[1,0,0]
	v_pk_mul_f16 v17, v4, v14 op_sel_hi:[0,1]
	v_pk_fma_f16 v18, v4, v14, v13 op_sel:[1,0,0] neg_lo:[1,0,0] neg_hi:[1,0,0]
	v_pk_fma_f16 v4, v4, v14, v13 op_sel:[1,0,0] neg_lo:[0,0,1] neg_hi:[0,0,1]
	s_delay_alu instid0(VALU_DEP_3) | instskip(SKIP_1) | instid1(VALU_DEP_4)
	v_pk_add_f16 v13, v16, v17 op_sel:[0,1] op_sel_hi:[1,0]
	v_pk_add_f16 v14, v16, v17 op_sel:[0,1] op_sel_hi:[1,0] neg_lo:[0,1] neg_hi:[0,1]
	v_pk_add_f16 v16, v18, v17 op_sel:[0,1] op_sel_hi:[1,0] neg_lo:[0,1] neg_hi:[0,1]
	s_delay_alu instid0(VALU_DEP_4) | instskip(NEXT) | instid1(VALU_DEP_3)
	v_pk_add_f16 v4, v4, v17 op_sel:[0,1] op_sel_hi:[1,0] neg_lo:[0,1] neg_hi:[0,1]
	v_bfi_b32 v13, 0xffff, v13, v14
	s_delay_alu instid0(VALU_DEP_2)
	v_bfi_b32 v4, 0xffff, v16, v4
	ds_store_b32 v7, v13
	ds_store_b32 v15, v4 offset:1944
	ds_load_b32 v4, v11
	ds_load_b32 v7, v15 offset:1728
	s_wait_dscnt 0x0
	v_pk_add_f16 v13, v4, v7 neg_lo:[0,1] neg_hi:[0,1]
	v_pk_add_f16 v4, v4, v7
	s_delay_alu instid0(VALU_DEP_1) | instskip(SKIP_1) | instid1(VALU_DEP_2)
	v_bfi_b32 v7, 0xffff, v13, v4
	v_bfi_b32 v4, 0xffff, v4, v13
	v_pk_mul_f16 v7, v7, 0.5 op_sel_hi:[1,0]
	s_delay_alu instid0(VALU_DEP_2) | instskip(SKIP_1) | instid1(VALU_DEP_2)
	v_pk_mul_f16 v4, v4, 0.5 op_sel_hi:[1,0]
	s_wait_loadcnt 0x2
	v_pk_mul_f16 v14, v20, v7 op_sel_hi:[0,1]
	s_delay_alu instid0(VALU_DEP_2) | instskip(SKIP_2) | instid1(VALU_DEP_3)
	v_pk_fma_f16 v13, v20, v7, v4 op_sel:[1,0,0]
	v_pk_fma_f16 v16, v20, v7, v4 op_sel:[1,0,0] neg_lo:[1,0,0] neg_hi:[1,0,0]
	v_pk_fma_f16 v4, v20, v7, v4 op_sel:[1,0,0] neg_lo:[0,0,1] neg_hi:[0,0,1]
	v_pk_add_f16 v7, v13, v14 op_sel:[0,1] op_sel_hi:[1,0]
	v_pk_add_f16 v13, v13, v14 op_sel:[0,1] op_sel_hi:[1,0] neg_lo:[0,1] neg_hi:[0,1]
	s_delay_alu instid0(VALU_DEP_4) | instskip(NEXT) | instid1(VALU_DEP_4)
	v_pk_add_f16 v16, v16, v14 op_sel:[0,1] op_sel_hi:[1,0] neg_lo:[0,1] neg_hi:[0,1]
	v_pk_add_f16 v4, v4, v14 op_sel:[0,1] op_sel_hi:[1,0] neg_lo:[0,1] neg_hi:[0,1]
	s_delay_alu instid0(VALU_DEP_3) | instskip(NEXT) | instid1(VALU_DEP_2)
	v_bfi_b32 v7, 0xffff, v7, v13
	v_bfi_b32 v4, 0xffff, v16, v4
	ds_store_b32 v11, v7
	ds_store_b32 v15, v4 offset:1728
	ds_load_b32 v4, v9
	ds_load_b32 v7, v15 offset:1512
	s_wait_dscnt 0x0
	v_pk_add_f16 v11, v4, v7 neg_lo:[0,1] neg_hi:[0,1]
	v_pk_add_f16 v4, v4, v7
	s_delay_alu instid0(VALU_DEP_1) | instskip(SKIP_1) | instid1(VALU_DEP_2)
	v_bfi_b32 v7, 0xffff, v11, v4
	v_bfi_b32 v4, 0xffff, v4, v11
	v_pk_mul_f16 v7, v7, 0.5 op_sel_hi:[1,0]
	s_delay_alu instid0(VALU_DEP_2) | instskip(SKIP_1) | instid1(VALU_DEP_2)
	v_pk_mul_f16 v4, v4, 0.5 op_sel_hi:[1,0]
	s_wait_loadcnt 0x1
	v_pk_mul_f16 v13, v10, v7 op_sel_hi:[0,1]
	s_delay_alu instid0(VALU_DEP_2) | instskip(SKIP_2) | instid1(VALU_DEP_3)
	v_pk_fma_f16 v11, v10, v7, v4 op_sel:[1,0,0]
	v_pk_fma_f16 v14, v10, v7, v4 op_sel:[1,0,0] neg_lo:[1,0,0] neg_hi:[1,0,0]
	v_pk_fma_f16 v4, v10, v7, v4 op_sel:[1,0,0] neg_lo:[0,0,1] neg_hi:[0,0,1]
	v_pk_add_f16 v7, v11, v13 op_sel:[0,1] op_sel_hi:[1,0]
	v_pk_add_f16 v10, v11, v13 op_sel:[0,1] op_sel_hi:[1,0] neg_lo:[0,1] neg_hi:[0,1]
	s_delay_alu instid0(VALU_DEP_4) | instskip(NEXT) | instid1(VALU_DEP_4)
	v_pk_add_f16 v11, v14, v13 op_sel:[0,1] op_sel_hi:[1,0] neg_lo:[0,1] neg_hi:[0,1]
	v_pk_add_f16 v4, v4, v13 op_sel:[0,1] op_sel_hi:[1,0] neg_lo:[0,1] neg_hi:[0,1]
	s_delay_alu instid0(VALU_DEP_3) | instskip(NEXT) | instid1(VALU_DEP_2)
	v_bfi_b32 v7, 0xffff, v7, v10
	v_bfi_b32 v4, 0xffff, v11, v4
	ds_store_b32 v9, v7
	ds_store_b32 v15, v4 offset:1512
	ds_load_b32 v4, v22 offset:864
	ds_load_b32 v7, v15 offset:1296
	s_wait_dscnt 0x0
	v_pk_add_f16 v9, v4, v7 neg_lo:[0,1] neg_hi:[0,1]
	v_pk_add_f16 v4, v4, v7
	s_delay_alu instid0(VALU_DEP_1) | instskip(SKIP_1) | instid1(VALU_DEP_2)
	v_bfi_b32 v7, 0xffff, v9, v4
	v_bfi_b32 v4, 0xffff, v4, v9
	v_pk_mul_f16 v7, v7, 0.5 op_sel_hi:[1,0]
	s_delay_alu instid0(VALU_DEP_2) | instskip(SKIP_1) | instid1(VALU_DEP_2)
	v_pk_mul_f16 v4, v4, 0.5 op_sel_hi:[1,0]
	s_wait_loadcnt 0x0
	v_pk_mul_f16 v10, v12, v7 op_sel_hi:[0,1]
	s_delay_alu instid0(VALU_DEP_2) | instskip(SKIP_2) | instid1(VALU_DEP_3)
	v_pk_fma_f16 v9, v12, v7, v4 op_sel:[1,0,0]
	v_pk_fma_f16 v11, v12, v7, v4 op_sel:[1,0,0] neg_lo:[1,0,0] neg_hi:[1,0,0]
	v_pk_fma_f16 v4, v12, v7, v4 op_sel:[1,0,0] neg_lo:[0,0,1] neg_hi:[0,0,1]
	v_pk_add_f16 v7, v9, v10 op_sel:[0,1] op_sel_hi:[1,0]
	v_pk_add_f16 v9, v9, v10 op_sel:[0,1] op_sel_hi:[1,0] neg_lo:[0,1] neg_hi:[0,1]
	s_delay_alu instid0(VALU_DEP_4) | instskip(NEXT) | instid1(VALU_DEP_4)
	v_pk_add_f16 v11, v11, v10 op_sel:[0,1] op_sel_hi:[1,0] neg_lo:[0,1] neg_hi:[0,1]
	v_pk_add_f16 v4, v4, v10 op_sel:[0,1] op_sel_hi:[1,0] neg_lo:[0,1] neg_hi:[0,1]
	s_delay_alu instid0(VALU_DEP_3) | instskip(NEXT) | instid1(VALU_DEP_2)
	v_bfi_b32 v7, 0xffff, v7, v9
	v_bfi_b32 v4, 0xffff, v11, v4
	ds_store_b32 v22, v7 offset:864
	ds_store_b32 v15, v4 offset:1296
	global_wb scope:SCOPE_SE
	s_wait_dscnt 0x0
	s_barrier_signal -1
	s_barrier_wait -1
	global_inv scope:SCOPE_SE
	s_and_saveexec_b32 s0, vcc_lo
	s_cbranch_execz .LBB0_30
; %bb.28:
	v_mul_lo_u32 v4, s5, v5
	v_mul_lo_u32 v6, s4, v6
	v_mad_co_u64_u32 v[9:10], null, s4, v5, 0
	v_lshl_add_u32 v5, v3, 2, v0
	v_lshlrev_b64_e32 v[0:1], 2, v[1:2]
	v_add_nc_u32_e32 v7, 54, v3
	ds_load_2addr_b32 v[11:12], v5 offset1:54
	v_add3_u32 v10, v10, v6, v4
	v_mov_b32_e32 v4, v8
	ds_load_2addr_b32 v[17:18], v5 offset0:108 offset1:162
	v_lshlrev_b64_e32 v[15:16], 2, v[7:8]
	v_add_nc_u32_e32 v7, 0x6c, v3
	v_lshlrev_b64_e32 v[9:10], 2, v[9:10]
	v_lshlrev_b64_e32 v[13:14], 2, v[3:4]
	s_delay_alu instid0(VALU_DEP_2) | instskip(SKIP_1) | instid1(VALU_DEP_3)
	v_add_co_u32 v2, vcc_lo, s6, v9
	s_wait_alu 0xfffd
	v_add_co_ci_u32_e32 v4, vcc_lo, s7, v10, vcc_lo
	v_lshlrev_b64_e32 v[9:10], 2, v[7:8]
	v_add_nc_u32_e32 v7, 0xa2, v3
	v_add_co_u32 v0, vcc_lo, v2, v0
	s_wait_alu 0xfffd
	v_add_co_ci_u32_e32 v1, vcc_lo, v4, v1, vcc_lo
	s_delay_alu instid0(VALU_DEP_3) | instskip(SKIP_4) | instid1(VALU_DEP_3)
	v_lshlrev_b64_e32 v[19:20], 2, v[7:8]
	v_add_nc_u32_e32 v7, 0xd8, v3
	v_add_co_u32 v13, vcc_lo, v0, v13
	s_wait_alu 0xfffd
	v_add_co_ci_u32_e32 v14, vcc_lo, v1, v14, vcc_lo
	v_lshlrev_b64_e32 v[21:22], 2, v[7:8]
	v_add_nc_u32_e32 v7, 0x10e, v3
	v_add_co_u32 v15, vcc_lo, v0, v15
	s_wait_alu 0xfffd
	v_add_co_ci_u32_e32 v16, vcc_lo, v1, v16, vcc_lo
	s_delay_alu instid0(VALU_DEP_3) | instskip(SKIP_4) | instid1(VALU_DEP_3)
	v_lshlrev_b64_e32 v[25:26], 2, v[7:8]
	v_add_nc_u32_e32 v7, 0x144, v3
	v_add_co_u32 v9, vcc_lo, v0, v9
	s_wait_alu 0xfffd
	v_add_co_ci_u32_e32 v10, vcc_lo, v1, v10, vcc_lo
	v_lshlrev_b64_e32 v[27:28], 2, v[7:8]
	v_add_nc_u32_e32 v7, 0x17a, v3
	v_add_co_u32 v19, vcc_lo, v0, v19
	v_add_nc_u32_e32 v2, 0x200, v5
	s_wait_alu 0xfffd
	v_add_co_ci_u32_e32 v20, vcc_lo, v1, v20, vcc_lo
	v_lshlrev_b64_e32 v[31:32], 2, v[7:8]
	v_add_nc_u32_e32 v7, 0x1b0, v3
	v_add_co_u32 v21, vcc_lo, v0, v21
	s_wait_alu 0xfffd
	v_add_co_ci_u32_e32 v22, vcc_lo, v1, v22, vcc_lo
	v_add_co_u32 v25, vcc_lo, v0, v25
	ds_load_2addr_b32 v[23:24], v2 offset0:88 offset1:142
	v_add_nc_u32_e32 v2, 0x400, v5
	v_lshlrev_b64_e32 v[35:36], 2, v[7:8]
	v_add_nc_u32_e32 v7, 0x1e6, v3
	s_wait_alu 0xfffd
	v_add_co_ci_u32_e32 v26, vcc_lo, v1, v26, vcc_lo
	v_add_co_u32 v27, vcc_lo, v0, v27
	s_wait_alu 0xfffd
	v_add_co_ci_u32_e32 v28, vcc_lo, v1, v28, vcc_lo
	ds_load_2addr_b32 v[29:30], v2 offset0:68 offset1:122
	v_add_co_u32 v31, vcc_lo, v0, v31
	v_lshlrev_b64_e32 v[6:7], 2, v[7:8]
	ds_load_2addr_b32 v[33:34], v2 offset0:176 offset1:230
	s_wait_alu 0xfffd
	v_add_co_ci_u32_e32 v32, vcc_lo, v1, v32, vcc_lo
	v_add_co_u32 v35, vcc_lo, v0, v35
	s_wait_alu 0xfffd
	v_add_co_ci_u32_e32 v36, vcc_lo, v1, v36, vcc_lo
	v_add_co_u32 v6, vcc_lo, v0, v6
	s_wait_alu 0xfffd
	v_add_co_ci_u32_e32 v7, vcc_lo, v1, v7, vcc_lo
	v_cmp_eq_u32_e32 vcc_lo, 53, v3
	s_wait_dscnt 0x4
	s_clause 0x1
	global_store_b32 v[13:14], v11, off
	global_store_b32 v[15:16], v12, off
	s_wait_dscnt 0x3
	s_clause 0x1
	global_store_b32 v[9:10], v17, off
	global_store_b32 v[19:20], v18, off
	;; [unrolled: 4-line block ×5, first 2 shown]
	s_and_b32 exec_lo, exec_lo, vcc_lo
	s_cbranch_execz .LBB0_30
; %bb.29:
	ds_load_b32 v2, v5 offset:1948
	s_wait_dscnt 0x0
	global_store_b32 v[0:1], v2, off offset:2160
.LBB0_30:
	s_nop 0
	s_sendmsg sendmsg(MSG_DEALLOC_VGPRS)
	s_endpgm
	.section	.rodata,"a",@progbits
	.p2align	6, 0x0
	.amdhsa_kernel fft_rtc_fwd_len540_factors_3_10_6_3_wgs_216_tpt_54_halfLds_half_op_CI_CI_unitstride_sbrr_R2C_dirReg
		.amdhsa_group_segment_fixed_size 0
		.amdhsa_private_segment_fixed_size 0
		.amdhsa_kernarg_size 104
		.amdhsa_user_sgpr_count 2
		.amdhsa_user_sgpr_dispatch_ptr 0
		.amdhsa_user_sgpr_queue_ptr 0
		.amdhsa_user_sgpr_kernarg_segment_ptr 1
		.amdhsa_user_sgpr_dispatch_id 0
		.amdhsa_user_sgpr_private_segment_size 0
		.amdhsa_wavefront_size32 1
		.amdhsa_uses_dynamic_stack 0
		.amdhsa_enable_private_segment 0
		.amdhsa_system_sgpr_workgroup_id_x 1
		.amdhsa_system_sgpr_workgroup_id_y 0
		.amdhsa_system_sgpr_workgroup_id_z 0
		.amdhsa_system_sgpr_workgroup_info 0
		.amdhsa_system_vgpr_workitem_id 0
		.amdhsa_next_free_vgpr 73
		.amdhsa_next_free_sgpr 39
		.amdhsa_reserve_vcc 1
		.amdhsa_float_round_mode_32 0
		.amdhsa_float_round_mode_16_64 0
		.amdhsa_float_denorm_mode_32 3
		.amdhsa_float_denorm_mode_16_64 3
		.amdhsa_fp16_overflow 0
		.amdhsa_workgroup_processor_mode 1
		.amdhsa_memory_ordered 1
		.amdhsa_forward_progress 0
		.amdhsa_round_robin_scheduling 0
		.amdhsa_exception_fp_ieee_invalid_op 0
		.amdhsa_exception_fp_denorm_src 0
		.amdhsa_exception_fp_ieee_div_zero 0
		.amdhsa_exception_fp_ieee_overflow 0
		.amdhsa_exception_fp_ieee_underflow 0
		.amdhsa_exception_fp_ieee_inexact 0
		.amdhsa_exception_int_div_zero 0
	.end_amdhsa_kernel
	.text
.Lfunc_end0:
	.size	fft_rtc_fwd_len540_factors_3_10_6_3_wgs_216_tpt_54_halfLds_half_op_CI_CI_unitstride_sbrr_R2C_dirReg, .Lfunc_end0-fft_rtc_fwd_len540_factors_3_10_6_3_wgs_216_tpt_54_halfLds_half_op_CI_CI_unitstride_sbrr_R2C_dirReg
                                        ; -- End function
	.section	.AMDGPU.csdata,"",@progbits
; Kernel info:
; codeLenInByte = 8620
; NumSgprs: 41
; NumVgprs: 73
; ScratchSize: 0
; MemoryBound: 0
; FloatMode: 240
; IeeeMode: 1
; LDSByteSize: 0 bytes/workgroup (compile time only)
; SGPRBlocks: 5
; VGPRBlocks: 9
; NumSGPRsForWavesPerEU: 41
; NumVGPRsForWavesPerEU: 73
; Occupancy: 16
; WaveLimiterHint : 1
; COMPUTE_PGM_RSRC2:SCRATCH_EN: 0
; COMPUTE_PGM_RSRC2:USER_SGPR: 2
; COMPUTE_PGM_RSRC2:TRAP_HANDLER: 0
; COMPUTE_PGM_RSRC2:TGID_X_EN: 1
; COMPUTE_PGM_RSRC2:TGID_Y_EN: 0
; COMPUTE_PGM_RSRC2:TGID_Z_EN: 0
; COMPUTE_PGM_RSRC2:TIDIG_COMP_CNT: 0
	.text
	.p2alignl 7, 3214868480
	.fill 96, 4, 3214868480
	.type	__hip_cuid_9d92c625f63b57e0,@object ; @__hip_cuid_9d92c625f63b57e0
	.section	.bss,"aw",@nobits
	.globl	__hip_cuid_9d92c625f63b57e0
__hip_cuid_9d92c625f63b57e0:
	.byte	0                               ; 0x0
	.size	__hip_cuid_9d92c625f63b57e0, 1

	.ident	"AMD clang version 19.0.0git (https://github.com/RadeonOpenCompute/llvm-project roc-6.4.0 25133 c7fe45cf4b819c5991fe208aaa96edf142730f1d)"
	.section	".note.GNU-stack","",@progbits
	.addrsig
	.addrsig_sym __hip_cuid_9d92c625f63b57e0
	.amdgpu_metadata
---
amdhsa.kernels:
  - .args:
      - .actual_access:  read_only
        .address_space:  global
        .offset:         0
        .size:           8
        .value_kind:     global_buffer
      - .offset:         8
        .size:           8
        .value_kind:     by_value
      - .actual_access:  read_only
        .address_space:  global
        .offset:         16
        .size:           8
        .value_kind:     global_buffer
      - .actual_access:  read_only
        .address_space:  global
        .offset:         24
        .size:           8
        .value_kind:     global_buffer
      - .actual_access:  read_only
        .address_space:  global
        .offset:         32
        .size:           8
        .value_kind:     global_buffer
      - .offset:         40
        .size:           8
        .value_kind:     by_value
      - .actual_access:  read_only
        .address_space:  global
        .offset:         48
        .size:           8
        .value_kind:     global_buffer
      - .actual_access:  read_only
        .address_space:  global
        .offset:         56
        .size:           8
        .value_kind:     global_buffer
      - .offset:         64
        .size:           4
        .value_kind:     by_value
      - .actual_access:  read_only
        .address_space:  global
        .offset:         72
        .size:           8
        .value_kind:     global_buffer
      - .actual_access:  read_only
        .address_space:  global
        .offset:         80
        .size:           8
        .value_kind:     global_buffer
      - .actual_access:  read_only
        .address_space:  global
        .offset:         88
        .size:           8
        .value_kind:     global_buffer
      - .actual_access:  write_only
        .address_space:  global
        .offset:         96
        .size:           8
        .value_kind:     global_buffer
    .group_segment_fixed_size: 0
    .kernarg_segment_align: 8
    .kernarg_segment_size: 104
    .language:       OpenCL C
    .language_version:
      - 2
      - 0
    .max_flat_workgroup_size: 216
    .name:           fft_rtc_fwd_len540_factors_3_10_6_3_wgs_216_tpt_54_halfLds_half_op_CI_CI_unitstride_sbrr_R2C_dirReg
    .private_segment_fixed_size: 0
    .sgpr_count:     41
    .sgpr_spill_count: 0
    .symbol:         fft_rtc_fwd_len540_factors_3_10_6_3_wgs_216_tpt_54_halfLds_half_op_CI_CI_unitstride_sbrr_R2C_dirReg.kd
    .uniform_work_group_size: 1
    .uses_dynamic_stack: false
    .vgpr_count:     73
    .vgpr_spill_count: 0
    .wavefront_size: 32
    .workgroup_processor_mode: 1
amdhsa.target:   amdgcn-amd-amdhsa--gfx1201
amdhsa.version:
  - 1
  - 2
...

	.end_amdgpu_metadata
